;; amdgpu-corpus repo=ROCm/rocFFT kind=compiled arch=gfx950 opt=O3
	.text
	.amdgcn_target "amdgcn-amd-amdhsa--gfx950"
	.amdhsa_code_object_version 6
	.protected	fft_rtc_back_len17_factors_17_wgs_120_tpt_1_dp_op_CI_CI_sbrc_xy_z_diag_dirReg ; -- Begin function fft_rtc_back_len17_factors_17_wgs_120_tpt_1_dp_op_CI_CI_sbrc_xy_z_diag_dirReg
	.globl	fft_rtc_back_len17_factors_17_wgs_120_tpt_1_dp_op_CI_CI_sbrc_xy_z_diag_dirReg
	.p2align	8
	.type	fft_rtc_back_len17_factors_17_wgs_120_tpt_1_dp_op_CI_CI_sbrc_xy_z_diag_dirReg,@function
fft_rtc_back_len17_factors_17_wgs_120_tpt_1_dp_op_CI_CI_sbrc_xy_z_diag_dirReg: ; @fft_rtc_back_len17_factors_17_wgs_120_tpt_1_dp_op_CI_CI_sbrc_xy_z_diag_dirReg
; %bb.0:
	s_load_dwordx8 s[4:11], s[0:1], 0x8
	v_add_u16_e32 v5, 0x78, v0
	s_mov_b32 s17, 0
	v_mov_b32_e32 v69, 0
	s_movk_i32 s18, 0xf10
	s_waitcnt lgkmcnt(0)
	s_load_dwordx4 s[12:15], s[6:7], 0x8
	s_load_dword s19, s[8:9], 0x10
	s_mov_b32 s26, 0x5d8e7cdc
	s_mov_b32 s28, 0x370991
	;; [unrolled: 1-line block ×3, first 2 shown]
	s_waitcnt lgkmcnt(0)
	s_add_i32 s3, s14, -1
	s_mul_hi_u32 s3, s3, 0x88888889
	s_lshr_b32 s3, s3, 6
	s_add_i32 s3, s3, 1
	s_mul_i32 s3, s3, s12
	v_cvt_f32_u32_e32 v1, s3
	s_load_dwordx4 s[12:15], s[0:1], 0x58
	s_sub_i32 s0, 0, s3
	s_mov_b32 s22, 0x75d4884
	v_rcp_iflag_f32_e32 v2, v1
	v_mul_u32_u24_e32 v1, 0xf10, v0
	v_lshrrev_b32_e32 v1, 16, v1
	v_mul_lo_u16_e32 v3, 17, v1
	v_mul_f32_e32 v2, 0x4f7ffffe, v2
	v_cvt_u32_f32_e32 v2, v2
	v_sub_u16_e32 v4, v0, v3
	v_mul_lo_u32 v68, s19, v1
	s_mov_b32 s34, 0x923c349f
	v_readfirstlane_b32 s1, v2
	s_mul_i32 s0, s0, s1
	s_mul_hi_u32 s0, s1, s0
	s_add_i32 s1, s1, s0
	s_mul_hi_u32 s0, s2, s1
	s_mul_i32 s1, s0, s3
	s_sub_i32 s1, s2, s1
	s_add_i32 s6, s0, 1
	s_sub_i32 s7, s1, s3
	s_cmp_ge_u32 s1, s3
	s_cselect_b32 s0, s6, s0
	s_cselect_b32 s1, s7, s1
	s_add_i32 s6, s0, 1
	s_cmp_ge_u32 s1, s3
	s_cselect_b32 s33, s6, s0
	s_mul_i32 s3, s33, s3
	s_sub_i32 s2, s2, s3
	s_mul_hi_u32 s3, s2, 0xf0f0f0f1
	s_lshr_b32 s3, s3, 4
	s_mul_i32 s3, s3, 17
	s_lshl_b64 s[0:1], s[4:5], 3
	s_sub_i32 s60, s2, s3
	s_add_u32 s2, s8, s0
	s_addc_u32 s3, s9, s1
	s_load_dwordx4 s[4:7], s[8:9], 0x0
	s_mov_b32 s36, 0xc61f0d01
	s_load_dwordx2 s[2:3], s[2:3], 0x0
	s_mov_b32 s38, 0x6c9a05f6
	s_mov_b32 s40, 0x6ed5f1bb
	s_waitcnt lgkmcnt(0)
	v_mad_u64_u32 v[2:3], s[8:9], s4, v4, 0
	s_mul_i32 s16, s60, s6
	s_mul_i32 s3, s3, s33
	s_mul_hi_u32 s6, s2, s33
	s_add_i32 s9, s6, s3
	s_add_u32 s0, s10, s0
	s_addc_u32 s1, s11, s1
	s_load_dwordx2 s[6:7], s[0:1], 0x0
	v_mov_b32_e32 v6, v3
	v_mad_u64_u32 v[6:7], s[0:1], s5, v4, v[6:7]
	s_mul_i32 s8, s2, s33
	s_load_dwordx4 s[0:3], s[10:11], 0x0
	s_waitcnt lgkmcnt(0)
	s_mul_i32 s3, s7, s33
	s_mul_hi_u32 s7, s6, s33
	v_mov_b32_e32 v3, v6
	s_add_i32 s7, s7, s3
	s_lshl_b64 s[8:9], s[8:9], 4
	v_mul_u32_u24_e32 v6, 0xf10, v5
	s_add_u32 s3, s12, s8
	v_lshrrev_b32_e32 v78, 16, v6
	s_addc_u32 s12, s13, s9
	s_lshl_b64 s[8:9], s[16:17], 4
	v_mul_lo_u16_e32 v6, 17, v78
	s_add_u32 s8, s3, s8
	v_sub_u16_e32 v5, v5, v6
	s_addc_u32 s9, s12, s9
	v_mad_u64_u32 v[6:7], s[12:13], s4, v5, 0
	v_mov_b32_e32 v8, v7
	v_mad_u64_u32 v[8:9], s[12:13], s5, v5, v[8:9]
	v_lshl_add_u64 v[2:3], v[2:3], 4, s[8:9]
	v_mov_b32_e32 v7, v8
	v_lshl_add_u64 v[2:3], v[68:69], 4, v[2:3]
	v_mul_lo_u32 v68, s19, v78
	v_lshl_add_u64 v[6:7], v[6:7], 4, s[8:9]
	s_mov_b32 s3, 0x16800f0
	v_lshl_add_u64 v[14:15], v[68:69], 4, v[6:7]
	global_load_dwordx4 v[6:9], v[2:3], off
	global_load_dwordx4 v[10:13], v[14:15], off
	v_pk_add_u16 v2, v0, s3 op_sel_hi:[0,1]
	v_and_b32_e32 v3, 0x1ff, v2
	v_mul_u32_u24_e32 v3, 0xf10, v3
	v_mul_u32_u24_sdwa v14, v2, s18 dst_sel:DWORD dst_unused:UNUSED_PAD src0_sel:WORD_1 src1_sel:DWORD
	s_mov_b32 s3, 0x7060302
	v_perm_b32 v79, v14, v3, s3
	v_lshrrev_b32_e32 v16, 16, v3
	v_pk_mul_lo_u16 v3, v79, 17 op_sel_hi:[1,0]
	v_lshrrev_b32_e32 v18, 16, v14
	v_pk_sub_i16 v80, v2, v3
	v_mul_lo_u32 v68, s19, v16
	v_and_b32_e32 v15, 0xffff, v80
	v_mad_u64_u32 v[2:3], s[12:13], s4, v15, 0
	v_mov_b32_e32 v14, v3
	v_mad_u64_u32 v[14:15], s[12:13], s5, v15, v[14:15]
	v_lshrrev_b32_e32 v17, 16, v80
	v_mov_b32_e32 v3, v14
	v_mad_u64_u32 v[14:15], s[12:13], s4, v17, 0
	v_mov_b32_e32 v16, v15
	v_mad_u64_u32 v[16:17], s[12:13], s5, v17, v[16:17]
	v_lshl_add_u64 v[2:3], v[2:3], 4, s[8:9]
	v_mov_b32_e32 v15, v16
	v_lshl_add_u64 v[2:3], v[68:69], 4, v[2:3]
	v_mul_lo_u32 v68, s19, v18
	v_lshl_add_u64 v[14:15], v[14:15], 4, s[8:9]
	s_mov_b32 s12, 0x25801e0
	v_lshl_add_u64 v[22:23], v[68:69], 4, v[14:15]
	global_load_dwordx4 v[14:17], v[2:3], off
	global_load_dwordx4 v[18:21], v[22:23], off
	v_pk_add_u16 v2, v0, s12 op_sel_hi:[0,1]
	v_and_b32_e32 v3, 0x3ff, v2
	v_mul_u32_u24_e32 v3, 0xf10, v3
	v_mul_u32_u24_sdwa v22, v2, s18 dst_sel:DWORD dst_unused:UNUSED_PAD src0_sel:WORD_1 src1_sel:DWORD
	v_perm_b32 v81, v22, v3, s3
	v_lshrrev_b32_e32 v24, 16, v3
	v_pk_mul_lo_u16 v3, v81, 17 op_sel_hi:[1,0]
	v_lshrrev_b32_e32 v26, 16, v22
	v_pk_sub_i16 v82, v2, v3
	v_mul_lo_u32 v68, s19, v24
	v_and_b32_e32 v23, 0xffff, v82
	v_mad_u64_u32 v[2:3], s[12:13], s4, v23, 0
	v_mov_b32_e32 v22, v3
	v_mad_u64_u32 v[22:23], s[12:13], s5, v23, v[22:23]
	v_lshrrev_b32_e32 v25, 16, v82
	v_mov_b32_e32 v3, v22
	v_mad_u64_u32 v[22:23], s[12:13], s4, v25, 0
	v_mov_b32_e32 v24, v23
	v_mad_u64_u32 v[24:25], s[12:13], s5, v25, v[24:25]
	v_lshl_add_u64 v[2:3], v[2:3], 4, s[8:9]
	v_mov_b32_e32 v23, v24
	v_lshl_add_u64 v[2:3], v[68:69], 4, v[2:3]
	v_mul_lo_u32 v68, s19, v26
	v_lshl_add_u64 v[22:23], v[22:23], 4, s[8:9]
	s_mov_b32 s12, 0x34802d0
	v_lshl_add_u64 v[30:31], v[68:69], 4, v[22:23]
	global_load_dwordx4 v[22:25], v[2:3], off
	global_load_dwordx4 v[26:29], v[30:31], off
	v_pk_add_u16 v2, v0, s12 op_sel_hi:[0,1]
	v_and_b32_e32 v3, 0x3ff, v2
	v_mul_u32_u24_e32 v3, 0xf10, v3
	v_mul_u32_u24_sdwa v30, v2, s18 dst_sel:DWORD dst_unused:UNUSED_PAD src0_sel:WORD_1 src1_sel:DWORD
	;; [unrolled: 28-line block ×6, first 2 shown]
	v_perm_b32 v91, v62, v3, s3
	v_lshrrev_b32_e32 v64, 16, v3
	v_pk_mul_lo_u16 v3, v91, 17 op_sel_hi:[1,0]
	v_lshrrev_b32_e32 v66, 16, v62
	v_pk_sub_i16 v92, v2, v3
	v_mul_lo_u32 v68, s19, v64
	v_and_b32_e32 v63, 0xffff, v92
	v_mad_u64_u32 v[2:3], s[12:13], s4, v63, 0
	v_mov_b32_e32 v62, v3
	v_mad_u64_u32 v[62:63], s[12:13], s5, v63, v[62:63]
	v_lshrrev_b32_e32 v65, 16, v92
	v_mov_b32_e32 v3, v62
	v_mad_u64_u32 v[62:63], s[12:13], s4, v65, 0
	v_mov_b32_e32 v64, v63
	v_mad_u64_u32 v[64:65], s[12:13], s5, v65, v[64:65]
	v_lshl_add_u64 v[2:3], v[2:3], 4, s[8:9]
	v_mov_b32_e32 v63, v64
	v_lshl_add_u64 v[2:3], v[68:69], 4, v[2:3]
	v_mul_lo_u32 v68, s19, v66
	v_lshl_add_u64 v[62:63], v[62:63], 4, s[8:9]
	v_lshl_add_u64 v[66:67], v[68:69], 4, v[62:63]
	global_load_dwordx4 v[62:65], v[2:3], off
	global_load_dwordx4 v[70:73], v[66:67], off
	v_or_b32_e32 v2, 0x780, v0
	v_mul_u32_u24_sdwa v3, v2, s18 dst_sel:DWORD dst_unused:UNUSED_PAD src0_sel:WORD_0 src1_sel:DWORD
	v_lshrrev_b32_e32 v93, 16, v3
	v_mul_lo_u16_e32 v3, 17, v93
	v_sub_u16_e32 v94, v2, v3
	v_mad_u64_u32 v[2:3], s[12:13], s4, v94, 0
	v_mov_b32_e32 v66, v3
	v_mad_u64_u32 v[66:67], s[4:5], s5, v94, v[66:67]
	v_mov_b32_e32 v3, v66
	v_mul_lo_u32 v68, s19, v93
	v_lshl_add_u64 v[2:3], v[2:3], 4, s[8:9]
	v_lshl_add_u64 v[2:3], v[68:69], 4, v[2:3]
	global_load_dwordx4 v[74:77], v[2:3], off
	v_mul_u32_u24_e32 v68, 0x223, v0
	s_movk_i32 s4, 0x78
	v_mul_lo_u16_sdwa v2, v68, s4 dst_sel:DWORD dst_unused:UNUSED_PAD src0_sel:WORD_1 src1_sel:DWORD
	v_sub_u16_e32 v112, v0, v2
	v_mul_lo_u16_e32 v0, 0x78, v4
	v_or_b32_e32 v0, v0, v1
	v_and_b32_e32 v0, 0xffff, v0
	v_lshl_add_u32 v0, v0, 4, 0
	s_waitcnt vmcnt(16)
	ds_write_b128 v0, v[6:9]
	v_mad_legacy_u16 v0, v5, s4, v78
	v_lshl_add_u32 v0, v0, 4, 0
	s_waitcnt vmcnt(15)
	ds_write_b128 v0, v[10:13]
	v_pk_mad_u16 v0, v80, s4, v79 op_sel_hi:[1,0,1]
	s_movk_i32 s5, 0x780
	v_and_b32_e32 v1, 0xffff, v0
	v_bfe_u32 v0, v0, 16, 16
	v_lshl_add_u32 v1, v1, 4, 0
	v_lshl_add_u32 v0, v0, 4, 0
	s_waitcnt vmcnt(14)
	ds_write_b128 v1, v[14:17]
	s_waitcnt vmcnt(13)
	ds_write_b128 v0, v[18:21]
	v_pk_mad_u16 v0, v82, s4, v81 op_sel_hi:[1,0,1]
	s_load_dword s3, s[10:11], 0x10
	v_and_b32_e32 v1, 0xffff, v0
	v_bfe_u32 v0, v0, 16, 16
	v_lshl_add_u32 v1, v1, 4, 0
	v_lshl_add_u32 v0, v0, 4, 0
	s_waitcnt vmcnt(12)
	ds_write_b128 v1, v[22:25]
	s_waitcnt vmcnt(11)
	ds_write_b128 v0, v[26:29]
	v_pk_mad_u16 v0, v84, s4, v83 op_sel_hi:[1,0,1]
	s_mov_b32 s10, 0x7c9e640b
	v_and_b32_e32 v1, 0xffff, v0
	v_bfe_u32 v0, v0, 16, 16
	v_lshl_add_u32 v1, v1, 4, 0
	v_lshl_add_u32 v0, v0, 4, 0
	s_waitcnt vmcnt(10)
	ds_write_b128 v1, v[30:33]
	s_waitcnt vmcnt(9)
	ds_write_b128 v0, v[34:37]
	v_pk_mad_u16 v0, v86, s4, v85 op_sel_hi:[1,0,1]
	s_mov_b32 s12, 0x2b2883cd
	;; [unrolled: 10-line block ×5, first 2 shown]
	v_and_b32_e32 v1, 0xffff, v0
	v_bfe_u32 v0, v0, 16, 16
	v_lshl_add_u32 v1, v1, 4, 0
	v_lshl_add_u32 v0, v0, 4, 0
	s_waitcnt vmcnt(2)
	ds_write_b128 v1, v[62:65]
	s_waitcnt vmcnt(1)
	ds_write_b128 v0, v[70:73]
	v_mad_legacy_u16 v0, v94, s4, v93
	v_lshl_add_u32 v0, v0, 4, 0
	v_lshlrev_b32_e32 v1, 4, v112
	s_mov_b32 s52, 0xacd6c6b4
	s_mov_b32 s54, 0x7faef3
	s_mov_b32 s27, 0xbfd71e95
	s_mov_b32 s29, 0x3fedd6d0
	s_mov_b32 s21, 0xbfe58eea
	s_mov_b32 s23, 0x3fe7a5f6
	s_mov_b32 s11, 0xbfeca52d
	s_mov_b32 s13, 0x3fdc86fa
	s_waitcnt vmcnt(0)
	ds_write_b128 v0, v[74:77]
	v_mul_u32_u24_sdwa v0, v68, s5 dst_sel:DWORD dst_unused:UNUSED_PAD src0_sel:WORD_1 src1_sel:DWORD
	v_add3_u32 v0, 0, v0, v1
	s_waitcnt lgkmcnt(0)
	s_barrier
	ds_read_b128 v[36:39], v0
	ds_read_b128 v[70:73], v0 offset:1920
	ds_read_b128 v[56:59], v0 offset:3840
	;; [unrolled: 1-line block ×16, first 2 shown]
	s_waitcnt lgkmcnt(14)
	v_add_f64 v[2:3], v[38:39], v[72:73]
	v_add_f64 v[0:1], v[36:37], v[70:71]
	;; [unrolled: 1-line block ×4, first 2 shown]
	s_waitcnt lgkmcnt(13)
	v_add_f64 v[2:3], v[2:3], v[50:51]
	v_add_f64 v[0:1], v[0:1], v[48:49]
	s_waitcnt lgkmcnt(12)
	v_add_f64 v[2:3], v[2:3], v[42:43]
	v_add_f64 v[0:1], v[0:1], v[40:41]
	;; [unrolled: 3-line block ×11, first 2 shown]
	s_waitcnt lgkmcnt(2)
	v_add_f64 v[2:3], v[2:3], v[54:55]
	s_mov_b32 s4, 0xeb564b22
	v_add_f64 v[0:1], v[0:1], v[52:53]
	s_waitcnt lgkmcnt(1)
	v_add_f64 v[2:3], v[2:3], v[62:63]
	s_waitcnt lgkmcnt(0)
	v_add_f64 v[66:67], v[72:73], v[76:77]
	v_add_f64 v[94:95], v[72:73], -v[76:77]
	s_mov_b32 s5, 0xbfefdd0d
	s_mov_b32 s9, 0x3fb79ee6
	;; [unrolled: 1-line block ×10, first 2 shown]
	v_add_f64 v[0:1], v[0:1], v[60:61]
	v_add_f64 v[2:3], v[2:3], v[76:77]
	;; [unrolled: 1-line block ×3, first 2 shown]
	v_add_f64 v[64:65], v[70:71], -v[74:75]
	v_mul_f64 v[76:77], v[94:95], s[26:27]
	v_mul_f64 v[70:71], v[66:67], s[28:29]
	s_mov_b32 s31, 0x3fd71e95
	s_mov_b32 s30, s26
	v_mul_f64 v[84:85], v[94:95], s[20:21]
	v_mul_f64 v[78:79], v[66:67], s[22:23]
	s_mov_b32 s25, 0x3fe58eea
	s_mov_b32 s24, s20
	;; [unrolled: 4-line block ×3, first 2 shown]
	v_mul_f64 v[98:99], v[94:95], s[4:5]
	v_mul_f64 v[102:103], v[94:95], s[34:35]
	;; [unrolled: 1-line block ×3, first 2 shown]
	v_add_f64 v[108:109], v[56:57], v[60:61]
	v_add_f64 v[56:57], v[56:57], -v[60:61]
	v_add_f64 v[60:61], v[48:49], v[52:53]
	v_add_f64 v[48:49], v[48:49], -v[52:53]
	;; [unrolled: 2-line block ×3, first 2 shown]
	v_mul_f64 v[44:45], v[94:95], s[42:43]
	v_mul_f64 v[94:95], v[94:95], s[52:53]
	s_mov_b32 s45, 0x3fefdd0d
	s_mov_b32 s44, s4
	v_mul_f64 v[116:117], v[66:67], s[8:9]
	s_mov_b32 s47, 0x3feec746
	s_mov_b32 s46, s34
	;; [unrolled: 3-line block ×4, first 2 shown]
	v_mul_f64 v[128:129], v[66:67], s[48:49]
	v_mul_f64 v[66:67], v[66:67], s[54:55]
	s_mov_b32 s59, 0x3fc7851a
	s_mov_b32 s58, s52
	v_add_f64 v[0:1], v[0:1], v[74:75]
	v_fma_f64 v[72:73], s[28:29], v[90:91], v[76:77]
	v_fma_f64 v[74:75], s[30:31], v[64:65], v[70:71]
	v_fma_f64 v[76:77], v[90:91], s[28:29], -v[76:77]
	v_fmac_f64_e32 v[70:71], s[26:27], v[64:65]
	v_fma_f64 v[80:81], s[22:23], v[90:91], v[84:85]
	v_fma_f64 v[82:83], s[24:25], v[64:65], v[78:79]
	v_fma_f64 v[84:85], v[90:91], s[22:23], -v[84:85]
	v_fmac_f64_e32 v[78:79], s[20:21], v[64:65]
	v_fma_f64 v[88:89], s[12:13], v[90:91], v[92:93]
	v_fma_f64 v[92:93], v[90:91], s[12:13], -v[92:93]
	v_fma_f64 v[96:97], s[8:9], v[90:91], v[98:99]
	v_fma_f64 v[98:99], v[90:91], s[8:9], -v[98:99]
	;; [unrolled: 2-line block ×4, first 2 shown]
	v_add_f64 v[110:111], v[58:59], v[62:63]
	v_add_f64 v[58:59], v[58:59], -v[62:63]
	v_add_f64 v[62:63], v[50:51], v[54:55]
	v_add_f64 v[50:51], v[50:51], -v[54:55]
	;; [unrolled: 2-line block ×3, first 2 shown]
	v_fma_f64 v[46:47], s[48:49], v[90:91], v[44:45]
	v_fma_f64 v[44:45], v[90:91], s[48:49], -v[44:45]
	v_fma_f64 v[114:115], s[54:55], v[90:91], v[94:95]
	v_fma_f64 v[90:91], v[90:91], s[54:55], -v[94:95]
	v_fma_f64 v[94:95], s[18:19], v[64:65], v[86:87]
	v_fmac_f64_e32 v[86:87], s[10:11], v[64:65]
	v_fma_f64 v[118:119], s[44:45], v[64:65], v[116:117]
	v_fmac_f64_e32 v[116:117], s[4:5], v[64:65]
	;; [unrolled: 2-line block ×6, first 2 shown]
	v_add_f64 v[64:65], v[36:37], v[72:73]
	v_add_f64 v[72:73], v[38:39], v[74:75]
	;; [unrolled: 1-line block ×22, first 2 shown]
	v_mul_f64 v[66:67], v[58:59], s[20:21]
	v_add_f64 v[92:93], v[36:37], v[92:93]
	v_add_f64 v[98:99], v[36:37], v[98:99]
	;; [unrolled: 1-line block ×10, first 2 shown]
	v_fma_f64 v[90:91], s[22:23], v[108:109], v[66:67]
	v_add_f64 v[64:65], v[90:91], v[64:65]
	v_mul_f64 v[90:91], v[110:111], s[22:23]
	v_fma_f64 v[66:67], v[108:109], s[22:23], -v[66:67]
	v_fma_f64 v[132:133], s[24:25], v[56:57], v[90:91]
	v_add_f64 v[66:67], v[66:67], v[74:75]
	v_fmac_f64_e32 v[90:91], s[20:21], v[56:57]
	v_mul_f64 v[74:75], v[58:59], s[4:5]
	v_add_f64 v[70:71], v[90:91], v[70:71]
	v_fma_f64 v[90:91], s[8:9], v[108:109], v[74:75]
	v_add_f64 v[76:77], v[90:91], v[76:77]
	v_mul_f64 v[90:91], v[110:111], s[8:9]
	v_fma_f64 v[74:75], v[108:109], s[8:9], -v[74:75]
	v_add_f64 v[72:73], v[132:133], v[72:73]
	v_fma_f64 v[132:133], s[44:45], v[56:57], v[90:91]
	v_add_f64 v[74:75], v[74:75], v[82:83]
	v_fmac_f64_e32 v[90:91], s[4:5], v[56:57]
	v_mul_f64 v[82:83], v[58:59], s[38:39]
	v_add_f64 v[78:79], v[90:91], v[78:79]
	v_fma_f64 v[90:91], s[40:41], v[108:109], v[82:83]
	v_add_f64 v[84:85], v[90:91], v[84:85]
	v_mul_f64 v[90:91], v[110:111], s[40:41]
	v_add_f64 v[80:81], v[132:133], v[80:81]
	v_fma_f64 v[132:133], s[50:51], v[56:57], v[90:91]
	v_fmac_f64_e32 v[90:91], s[38:39], v[56:57]
	v_fma_f64 v[82:83], v[108:109], s[40:41], -v[82:83]
	v_add_f64 v[86:87], v[90:91], v[86:87]
	v_mul_f64 v[90:91], v[58:59], s[52:53]
	v_add_f64 v[82:83], v[82:83], v[92:93]
	v_fma_f64 v[92:93], s[54:55], v[108:109], v[90:91]
	v_add_f64 v[92:93], v[92:93], v[94:95]
	v_mul_f64 v[94:95], v[110:111], s[54:55]
	v_fma_f64 v[90:91], v[108:109], s[54:55], -v[90:91]
	v_add_f64 v[88:89], v[132:133], v[88:89]
	v_fma_f64 v[132:133], s[58:59], v[56:57], v[94:95]
	v_add_f64 v[90:91], v[90:91], v[98:99]
	v_fmac_f64_e32 v[94:95], s[52:53], v[56:57]
	v_mul_f64 v[98:99], v[58:59], s[56:57]
	v_add_f64 v[94:95], v[94:95], v[116:117]
	v_fma_f64 v[116:117], s[48:49], v[108:109], v[98:99]
	v_add_f64 v[100:101], v[116:117], v[100:101]
	v_mul_f64 v[116:117], v[110:111], s[48:49]
	v_add_f64 v[96:97], v[132:133], v[96:97]
	v_fma_f64 v[132:133], s[42:43], v[56:57], v[116:117]
	v_fma_f64 v[98:99], v[108:109], s[48:49], -v[98:99]
	v_fmac_f64_e32 v[116:117], s[56:57], v[56:57]
	v_add_f64 v[98:99], v[98:99], v[102:103]
	v_add_f64 v[102:103], v[116:117], v[120:121]
	v_mul_f64 v[116:117], v[58:59], s[46:47]
	v_fma_f64 v[120:121], s[36:37], v[108:109], v[116:117]
	v_add_f64 v[104:105], v[120:121], v[104:105]
	v_mul_f64 v[120:121], v[110:111], s[36:37]
	v_add_f64 v[118:119], v[132:133], v[118:119]
	v_fma_f64 v[132:133], s[34:35], v[56:57], v[120:121]
	v_fma_f64 v[116:117], v[108:109], s[36:37], -v[116:117]
	v_fmac_f64_e32 v[120:121], s[46:47], v[56:57]
	v_add_f64 v[106:107], v[116:117], v[106:107]
	v_add_f64 v[116:117], v[120:121], v[124:125]
	v_mul_f64 v[120:121], v[58:59], s[18:19]
	v_fma_f64 v[124:125], s[12:13], v[108:109], v[120:121]
	v_add_f64 v[46:47], v[124:125], v[46:47]
	v_mul_f64 v[124:125], v[110:111], s[12:13]
	v_add_f64 v[122:123], v[132:133], v[122:123]
	v_fma_f64 v[132:133], s[10:11], v[56:57], v[124:125]
	v_fma_f64 v[120:121], v[108:109], s[12:13], -v[120:121]
	v_fmac_f64_e32 v[124:125], s[18:19], v[56:57]
	v_mul_f64 v[58:59], v[58:59], s[30:31]
	v_add_f64 v[44:45], v[120:121], v[44:45]
	v_add_f64 v[120:121], v[124:125], v[128:129]
	v_fma_f64 v[124:125], s[28:29], v[108:109], v[58:59]
	v_mul_f64 v[110:111], v[110:111], s[28:29]
	v_add_f64 v[114:115], v[124:125], v[114:115]
	v_fma_f64 v[124:125], s[26:27], v[56:57], v[110:111]
	v_fma_f64 v[58:59], v[108:109], s[28:29], -v[58:59]
	v_fmac_f64_e32 v[110:111], s[30:31], v[56:57]
	v_mul_f64 v[56:57], v[50:51], s[10:11]
	v_add_f64 v[36:37], v[58:59], v[36:37]
	v_fma_f64 v[58:59], s[12:13], v[60:61], v[56:57]
	v_add_f64 v[58:59], v[58:59], v[64:65]
	v_mul_f64 v[64:65], v[62:63], s[12:13]
	v_fma_f64 v[56:57], v[60:61], s[12:13], -v[56:57]
	v_fma_f64 v[108:109], s[18:19], v[48:49], v[64:65]
	v_add_f64 v[56:57], v[56:57], v[66:67]
	v_fmac_f64_e32 v[64:65], s[10:11], v[48:49]
	v_mul_f64 v[66:67], v[50:51], s[38:39]
	v_add_f64 v[64:65], v[64:65], v[70:71]
	v_fma_f64 v[70:71], s[40:41], v[60:61], v[66:67]
	v_add_f64 v[70:71], v[70:71], v[76:77]
	v_mul_f64 v[76:77], v[62:63], s[40:41]
	v_add_f64 v[72:73], v[108:109], v[72:73]
	v_fma_f64 v[108:109], s[50:51], v[48:49], v[76:77]
	v_fma_f64 v[66:67], v[60:61], s[40:41], -v[66:67]
	v_fmac_f64_e32 v[76:77], s[38:39], v[48:49]
	v_add_f64 v[66:67], v[66:67], v[74:75]
	v_add_f64 v[74:75], v[76:77], v[78:79]
	v_mul_f64 v[76:77], v[50:51], s[58:59]
	v_fma_f64 v[78:79], s[54:55], v[60:61], v[76:77]
	v_add_f64 v[78:79], v[78:79], v[84:85]
	v_mul_f64 v[84:85], v[62:63], s[54:55]
	v_add_f64 v[80:81], v[108:109], v[80:81]
	v_fma_f64 v[108:109], s[52:53], v[48:49], v[84:85]
	v_fma_f64 v[76:77], v[60:61], s[54:55], -v[76:77]
	v_fmac_f64_e32 v[84:85], s[58:59], v[48:49]
	v_add_f64 v[76:77], v[76:77], v[82:83]
	v_add_f64 v[82:83], v[84:85], v[86:87]
	v_mul_f64 v[84:85], v[50:51], s[46:47]
	;; [unrolled: 10-line block ×4, first 2 shown]
	v_fma_f64 v[102:103], s[28:29], v[60:61], v[100:101]
	v_add_f64 v[102:103], v[102:103], v[104:105]
	v_mul_f64 v[104:105], v[62:63], s[28:29]
	v_fma_f64 v[100:101], v[60:61], s[28:29], -v[100:101]
	v_add_f64 v[38:39], v[110:111], v[38:39]
	v_fma_f64 v[110:111], s[30:31], v[48:49], v[104:105]
	v_add_f64 v[100:101], v[100:101], v[106:107]
	v_fmac_f64_e32 v[104:105], s[26:27], v[48:49]
	v_mul_f64 v[106:107], v[50:51], s[4:5]
	v_add_f64 v[104:105], v[104:105], v[116:117]
	v_fma_f64 v[116:117], s[8:9], v[60:61], v[106:107]
	v_add_f64 v[46:47], v[116:117], v[46:47]
	v_mul_f64 v[116:117], v[62:63], s[8:9]
	v_add_f64 v[108:109], v[108:109], v[118:119]
	v_fma_f64 v[118:119], s[44:45], v[48:49], v[116:117]
	v_fma_f64 v[106:107], v[60:61], s[8:9], -v[106:107]
	v_fmac_f64_e32 v[116:117], s[4:5], v[48:49]
	v_mul_f64 v[50:51], v[50:51], s[42:43]
	v_add_f64 v[44:45], v[106:107], v[44:45]
	v_add_f64 v[106:107], v[116:117], v[120:121]
	v_fma_f64 v[116:117], s[48:49], v[60:61], v[50:51]
	v_mul_f64 v[62:63], v[62:63], s[48:49]
	v_add_f64 v[114:115], v[116:117], v[114:115]
	v_fma_f64 v[116:117], s[56:57], v[48:49], v[62:63]
	v_fma_f64 v[50:51], v[60:61], s[48:49], -v[50:51]
	v_fmac_f64_e32 v[62:63], s[42:43], v[48:49]
	v_mul_f64 v[48:49], v[42:43], s[4:5]
	v_add_f64 v[36:37], v[50:51], v[36:37]
	v_fma_f64 v[50:51], s[8:9], v[52:53], v[48:49]
	v_add_f64 v[50:51], v[50:51], v[58:59]
	v_mul_f64 v[58:59], v[54:55], s[8:9]
	v_fma_f64 v[60:61], s[44:45], v[40:41], v[58:59]
	v_fma_f64 v[48:49], v[52:53], s[8:9], -v[48:49]
	v_fmac_f64_e32 v[58:59], s[4:5], v[40:41]
	v_add_f64 v[48:49], v[48:49], v[56:57]
	v_add_f64 v[56:57], v[58:59], v[64:65]
	v_mul_f64 v[58:59], v[42:43], s[52:53]
	v_add_f64 v[38:39], v[62:63], v[38:39]
	v_fma_f64 v[62:63], s[54:55], v[52:53], v[58:59]
	v_mul_f64 v[64:65], v[54:55], s[54:55]
	v_fma_f64 v[58:59], v[52:53], s[54:55], -v[58:59]
	v_add_f64 v[62:63], v[62:63], v[70:71]
	v_fma_f64 v[70:71], s[58:59], v[40:41], v[64:65]
	v_add_f64 v[58:59], v[58:59], v[66:67]
	v_fmac_f64_e32 v[64:65], s[52:53], v[40:41]
	v_mul_f64 v[66:67], v[42:43], s[46:47]
	v_add_f64 v[60:61], v[60:61], v[72:73]
	v_add_f64 v[64:65], v[64:65], v[74:75]
	v_fma_f64 v[72:73], s[36:37], v[52:53], v[66:67]
	v_mul_f64 v[74:75], v[54:55], s[36:37]
	v_fma_f64 v[66:67], v[52:53], s[36:37], -v[66:67]
	v_add_f64 v[72:73], v[72:73], v[78:79]
	v_fma_f64 v[78:79], s[34:35], v[40:41], v[74:75]
	v_add_f64 v[66:67], v[66:67], v[76:77]
	v_fmac_f64_e32 v[74:75], s[46:47], v[40:41]
	v_mul_f64 v[76:77], v[42:43], s[30:31]
	v_add_f64 v[70:71], v[70:71], v[80:81]
	;; [unrolled: 10-line block ×5, first 2 shown]
	v_fma_f64 v[104:105], s[40:41], v[52:53], v[100:101]
	v_add_f64 v[46:47], v[104:105], v[46:47]
	v_mul_f64 v[104:105], v[54:55], s[40:41]
	v_add_f64 v[94:95], v[94:95], v[108:109]
	v_fma_f64 v[108:109], s[38:39], v[40:41], v[104:105]
	v_fma_f64 v[100:101], v[52:53], s[40:41], -v[100:101]
	v_fmac_f64_e32 v[104:105], s[50:51], v[40:41]
	v_mul_f64 v[42:43], v[42:43], s[24:25]
	v_add_f64 v[44:45], v[100:101], v[44:45]
	v_add_f64 v[100:101], v[104:105], v[106:107]
	v_fma_f64 v[104:105], s[22:23], v[52:53], v[42:43]
	v_fma_f64 v[42:43], v[52:53], s[22:23], -v[42:43]
	v_mul_f64 v[54:55], v[54:55], s[22:23]
	v_add_f64 v[36:37], v[42:43], v[36:37]
	v_add_f64 v[42:43], v[30:31], v[34:35]
	v_add_f64 v[30:31], v[30:31], -v[34:35]
	v_fma_f64 v[106:107], s[20:21], v[40:41], v[54:55]
	v_fmac_f64_e32 v[54:55], s[24:25], v[40:41]
	v_add_f64 v[40:41], v[28:29], v[32:33]
	v_add_f64 v[28:29], v[28:29], -v[32:33]
	v_mul_f64 v[32:33], v[30:31], s[34:35]
	v_fma_f64 v[34:35], s[36:37], v[40:41], v[32:33]
	v_add_f64 v[34:35], v[34:35], v[50:51]
	v_mul_f64 v[50:51], v[42:43], s[36:37]
	v_fma_f64 v[52:53], s[46:47], v[28:29], v[50:51]
	v_fma_f64 v[32:33], v[40:41], s[36:37], -v[32:33]
	v_fmac_f64_e32 v[50:51], s[34:35], v[28:29]
	v_add_f64 v[32:33], v[32:33], v[48:49]
	v_add_f64 v[48:49], v[50:51], v[56:57]
	v_mul_f64 v[50:51], v[30:31], s[56:57]
	v_add_f64 v[38:39], v[54:55], v[38:39]
	v_fma_f64 v[54:55], s[48:49], v[40:41], v[50:51]
	v_fma_f64 v[50:51], v[40:41], s[48:49], -v[50:51]
	v_add_f64 v[50:51], v[50:51], v[58:59]
	v_mul_f64 v[58:59], v[30:31], s[24:25]
	v_add_f64 v[54:55], v[54:55], v[62:63]
	v_mul_f64 v[56:57], v[42:43], s[48:49]
	v_fma_f64 v[62:63], s[22:23], v[40:41], v[58:59]
	v_fma_f64 v[58:59], v[40:41], s[22:23], -v[58:59]
	v_add_f64 v[52:53], v[52:53], v[60:61]
	v_fma_f64 v[60:61], s[42:43], v[28:29], v[56:57]
	v_fmac_f64_e32 v[56:57], s[56:57], v[28:29]
	v_add_f64 v[58:59], v[58:59], v[66:67]
	v_mul_f64 v[66:67], v[30:31], s[10:11]
	v_add_f64 v[56:57], v[56:57], v[64:65]
	v_add_f64 v[62:63], v[62:63], v[72:73]
	v_mul_f64 v[64:65], v[42:43], s[22:23]
	v_fma_f64 v[72:73], s[12:13], v[40:41], v[66:67]
	v_fma_f64 v[66:67], v[40:41], s[12:13], -v[66:67]
	v_add_f64 v[60:61], v[60:61], v[70:71]
	v_fma_f64 v[70:71], s[20:21], v[28:29], v[64:65]
	v_fmac_f64_e32 v[64:65], s[24:25], v[28:29]
	v_add_f64 v[66:67], v[66:67], v[76:77]
	v_mul_f64 v[76:77], v[30:31], s[52:53]
	v_add_f64 v[64:65], v[64:65], v[74:75]
	;; [unrolled: 10-line block ×4, first 2 shown]
	v_add_f64 v[88:89], v[88:89], v[96:97]
	v_mul_f64 v[90:91], v[42:43], s[8:9]
	v_fma_f64 v[96:97], s[28:29], v[40:41], v[92:93]
	v_add_f64 v[86:87], v[86:87], v[94:95]
	v_fma_f64 v[94:95], s[4:5], v[28:29], v[90:91]
	v_fmac_f64_e32 v[90:91], s[44:45], v[28:29]
	v_add_f64 v[46:47], v[96:97], v[46:47]
	v_mul_f64 v[96:97], v[42:43], s[28:29]
	v_add_f64 v[90:91], v[90:91], v[98:99]
	v_fma_f64 v[98:99], s[30:31], v[28:29], v[96:97]
	v_fma_f64 v[92:93], v[40:41], s[28:29], -v[92:93]
	v_fmac_f64_e32 v[96:97], s[26:27], v[28:29]
	v_mul_f64 v[42:43], v[42:43], s[40:41]
	v_add_f64 v[44:45], v[92:93], v[44:45]
	v_add_f64 v[92:93], v[96:97], v[100:101]
	v_mul_f64 v[30:31], v[30:31], s[38:39]
	v_fma_f64 v[100:101], s[50:51], v[28:29], v[42:43]
	v_fmac_f64_e32 v[42:43], s[38:39], v[28:29]
	v_fma_f64 v[96:97], s[40:41], v[40:41], v[30:31]
	v_fma_f64 v[30:31], v[40:41], s[40:41], -v[30:31]
	v_add_f64 v[28:29], v[42:43], v[38:39]
	v_add_f64 v[38:39], v[22:23], v[26:27]
	v_add_f64 v[22:23], v[22:23], -v[26:27]
	v_add_f64 v[30:31], v[30:31], v[36:37]
	v_add_f64 v[36:37], v[20:21], v[24:25]
	v_add_f64 v[20:21], v[20:21], -v[24:25]
	v_mul_f64 v[24:25], v[22:23], s[38:39]
	v_fma_f64 v[26:27], s[40:41], v[36:37], v[24:25]
	v_add_f64 v[26:27], v[26:27], v[34:35]
	v_mul_f64 v[34:35], v[38:39], s[40:41]
	v_fma_f64 v[40:41], s[50:51], v[20:21], v[34:35]
	v_fma_f64 v[24:25], v[36:37], s[40:41], -v[24:25]
	v_fmac_f64_e32 v[34:35], s[38:39], v[20:21]
	v_add_f64 v[24:25], v[24:25], v[32:33]
	v_add_f64 v[32:33], v[34:35], v[48:49]
	v_mul_f64 v[34:35], v[22:23], s[46:47]
	v_fma_f64 v[42:43], s[36:37], v[36:37], v[34:35]
	v_fma_f64 v[34:35], v[36:37], s[36:37], -v[34:35]
	v_add_f64 v[34:35], v[34:35], v[50:51]
	v_mul_f64 v[50:51], v[22:23], s[26:27]
	v_add_f64 v[42:43], v[42:43], v[54:55]
	v_mul_f64 v[48:49], v[38:39], s[36:37]
	v_fma_f64 v[54:55], s[28:29], v[36:37], v[50:51]
	v_fma_f64 v[50:51], v[36:37], s[28:29], -v[50:51]
	v_add_f64 v[40:41], v[40:41], v[52:53]
	v_fma_f64 v[52:53], s[34:35], v[20:21], v[48:49]
	v_fmac_f64_e32 v[48:49], s[46:47], v[20:21]
	v_add_f64 v[50:51], v[50:51], v[58:59]
	v_mul_f64 v[58:59], v[22:23], s[42:43]
	v_add_f64 v[48:49], v[48:49], v[56:57]
	v_add_f64 v[54:55], v[54:55], v[62:63]
	v_mul_f64 v[56:57], v[38:39], s[28:29]
	v_fma_f64 v[62:63], s[48:49], v[36:37], v[58:59]
	v_fma_f64 v[58:59], v[36:37], s[48:49], -v[58:59]
	v_add_f64 v[52:53], v[52:53], v[60:61]
	v_fma_f64 v[60:61], s[30:31], v[20:21], v[56:57]
	v_fmac_f64_e32 v[56:57], s[26:27], v[20:21]
	v_add_f64 v[58:59], v[58:59], v[66:67]
	v_mul_f64 v[66:67], v[22:23], s[44:45]
	v_add_f64 v[56:57], v[56:57], v[64:65]
	;; [unrolled: 10-line block ×4, first 2 shown]
	v_add_f64 v[80:81], v[80:81], v[88:89]
	v_mul_f64 v[82:83], v[38:39], s[22:23]
	v_fma_f64 v[88:89], s[54:55], v[36:37], v[84:85]
	v_add_f64 v[78:79], v[78:79], v[86:87]
	v_fma_f64 v[86:87], s[24:25], v[20:21], v[82:83]
	v_fmac_f64_e32 v[82:83], s[20:21], v[20:21]
	v_add_f64 v[46:47], v[88:89], v[46:47]
	v_mul_f64 v[88:89], v[38:39], s[54:55]
	v_add_f64 v[82:83], v[82:83], v[90:91]
	v_fma_f64 v[90:91], s[58:59], v[20:21], v[88:89]
	v_fma_f64 v[84:85], v[36:37], s[54:55], -v[84:85]
	v_fmac_f64_e32 v[88:89], s[52:53], v[20:21]
	v_mul_f64 v[22:23], v[22:23], s[18:19]
	v_add_f64 v[44:45], v[84:85], v[44:45]
	v_add_f64 v[84:85], v[88:89], v[92:93]
	v_fma_f64 v[88:89], s[12:13], v[36:37], v[22:23]
	v_mul_f64 v[38:39], v[38:39], s[12:13]
	v_fma_f64 v[22:23], v[36:37], s[12:13], -v[22:23]
	v_fma_f64 v[92:93], s[10:11], v[20:21], v[38:39]
	v_add_f64 v[22:23], v[22:23], v[30:31]
	v_fmac_f64_e32 v[38:39], s[18:19], v[20:21]
	v_add_f64 v[30:31], v[14:15], v[18:19]
	v_add_f64 v[14:15], v[14:15], -v[18:19]
	v_add_f64 v[20:21], v[38:39], v[28:29]
	v_add_f64 v[28:29], v[12:13], v[16:17]
	v_add_f64 v[12:13], v[12:13], -v[16:17]
	v_mul_f64 v[16:17], v[14:15], s[42:43]
	v_fma_f64 v[18:19], s[48:49], v[28:29], v[16:17]
	v_add_f64 v[18:19], v[18:19], v[26:27]
	v_mul_f64 v[26:27], v[30:31], s[48:49]
	v_fma_f64 v[36:37], s[56:57], v[12:13], v[26:27]
	v_fma_f64 v[16:17], v[28:29], s[48:49], -v[16:17]
	v_fmac_f64_e32 v[26:27], s[42:43], v[12:13]
	v_add_f64 v[16:17], v[16:17], v[24:25]
	v_add_f64 v[24:25], v[26:27], v[32:33]
	v_mul_f64 v[26:27], v[14:15], s[18:19]
	v_mul_f64 v[38:39], v[30:31], s[12:13]
	v_add_f64 v[36:37], v[36:37], v[40:41]
	v_fma_f64 v[32:33], s[12:13], v[28:29], v[26:27]
	v_fma_f64 v[40:41], s[10:11], v[12:13], v[38:39]
	v_fma_f64 v[26:27], v[28:29], s[12:13], -v[26:27]
	v_fmac_f64_e32 v[38:39], s[18:19], v[12:13]
	v_add_f64 v[26:27], v[26:27], v[34:35]
	v_add_f64 v[34:35], v[38:39], v[48:49]
	v_mul_f64 v[48:49], v[30:31], s[8:9]
	v_add_f64 v[110:111], v[110:111], v[122:123]
	v_add_f64 v[40:41], v[40:41], v[52:53]
	v_mul_f64 v[38:39], v[14:15], s[4:5]
	v_fma_f64 v[52:53], s[44:45], v[12:13], v[48:49]
	v_fmac_f64_e32 v[48:49], s[4:5], v[12:13]
	v_add_f64 v[102:103], v[102:103], v[110:111]
	v_add_f64 v[32:33], v[32:33], v[42:43]
	v_fma_f64 v[42:43], s[8:9], v[28:29], v[38:39]
	v_fma_f64 v[38:39], v[28:29], s[8:9], -v[38:39]
	v_add_f64 v[48:49], v[48:49], v[56:57]
	v_mul_f64 v[56:57], v[30:31], s[40:41]
	v_add_f64 v[124:125], v[124:125], v[130:131]
	v_add_f64 v[94:95], v[94:95], v[102:103]
	;; [unrolled: 1-line block ×4, first 2 shown]
	v_mul_f64 v[50:51], v[14:15], s[50:51]
	v_fma_f64 v[60:61], s[38:39], v[12:13], v[56:57]
	v_fmac_f64_e32 v[56:57], s[50:51], v[12:13]
	v_add_f64 v[126:127], v[132:133], v[126:127]
	v_add_f64 v[116:117], v[116:117], v[124:125]
	v_add_f64 v[86:87], v[86:87], v[94:95]
	v_add_f64 v[42:43], v[42:43], v[54:55]
	v_fma_f64 v[54:55], s[40:41], v[28:29], v[50:51]
	v_fma_f64 v[50:51], v[28:29], s[40:41], -v[50:51]
	v_add_f64 v[94:95], v[56:57], v[64:65]
	v_mul_f64 v[56:57], v[14:15], s[26:27]
	v_add_f64 v[118:119], v[118:119], v[126:127]
	v_add_f64 v[104:105], v[104:105], v[114:115]
	;; [unrolled: 1-line block ×4, first 2 shown]
	v_fma_f64 v[58:59], s[28:29], v[28:29], v[56:57]
	v_add_f64 v[114:115], v[6:7], -v[10:11]
	v_add_f64 v[108:109], v[108:109], v[118:119]
	v_add_f64 v[96:97], v[96:97], v[104:105]
	;; [unrolled: 1-line block ×4, first 2 shown]
	v_mul_f64 v[58:59], v[30:31], s[28:29]
	v_fma_f64 v[56:57], v[28:29], s[28:29], -v[56:57]
	v_add_f64 v[106:107], v[4:5], v[8:9]
	v_add_f64 v[110:111], v[4:5], -v[8:9]
	v_mul_f64 v[4:5], v[114:115], s[52:53]
	v_add_f64 v[98:99], v[98:99], v[108:109]
	v_add_f64 v[88:89], v[88:89], v[96:97]
	v_add_f64 v[70:71], v[60:61], v[70:71]
	v_fma_f64 v[60:61], s[30:31], v[12:13], v[58:59]
	v_add_f64 v[96:97], v[56:57], v[66:67]
	v_fmac_f64_e32 v[58:59], s[26:27], v[12:13]
	v_mul_f64 v[56:57], v[14:15], s[52:53]
	v_add_f64 v[108:109], v[6:7], v[10:11]
	v_fma_f64 v[6:7], s[54:55], v[106:107], v[4:5]
	v_add_f64 v[74:75], v[58:59], v[74:75]
	v_fma_f64 v[58:59], s[54:55], v[28:29], v[56:57]
	v_add_f64 v[64:65], v[6:7], v[18:19]
	v_mul_f64 v[6:7], v[108:109], s[54:55]
	v_add_f64 v[80:81], v[58:59], v[80:81]
	v_mul_f64 v[58:59], v[30:31], s[54:55]
	v_fma_f64 v[56:57], v[28:29], s[54:55], -v[56:57]
	v_fma_f64 v[8:9], s[58:59], v[110:111], v[6:7]
	v_add_f64 v[78:79], v[60:61], v[78:79]
	v_fma_f64 v[60:61], s[58:59], v[12:13], v[58:59]
	v_add_f64 v[76:77], v[56:57], v[76:77]
	v_fmac_f64_e32 v[58:59], s[52:53], v[12:13]
	v_mul_f64 v[56:57], v[14:15], s[24:25]
	v_add_f64 v[66:67], v[8:9], v[36:37]
	v_mul_f64 v[8:9], v[114:115], s[30:31]
	v_add_f64 v[82:83], v[58:59], v[82:83]
	v_fma_f64 v[58:59], s[22:23], v[28:29], v[56:57]
	v_fma_f64 v[56:57], v[28:29], s[22:23], -v[56:57]
	v_mul_f64 v[14:15], v[14:15], s[34:35]
	v_fma_f64 v[10:11], s[28:29], v[106:107], v[8:9]
	v_add_f64 v[90:91], v[90:91], v[98:99]
	v_add_f64 v[92:93], v[92:93], v[100:101]
	;; [unrolled: 1-line block ×4, first 2 shown]
	v_mul_f64 v[46:47], v[30:31], s[22:23]
	v_add_f64 v[100:101], v[56:57], v[44:45]
	v_fma_f64 v[44:45], s[36:37], v[28:29], v[14:15]
	v_mul_f64 v[30:31], v[30:31], s[36:37]
	v_add_f64 v[60:61], v[10:11], v[32:33]
	v_mul_f64 v[10:11], v[108:109], s[28:29]
	v_fma_f64 v[58:59], s[20:21], v[12:13], v[46:47]
	v_fmac_f64_e32 v[46:47], s[24:25], v[12:13]
	v_add_f64 v[88:89], v[44:45], v[88:89]
	v_fma_f64 v[44:45], s[46:47], v[12:13], v[30:31]
	v_fmac_f64_e32 v[30:31], s[34:35], v[12:13]
	v_fma_f64 v[12:13], s[26:27], v[110:111], v[10:11]
	v_add_f64 v[54:55], v[54:55], v[62:63]
	v_fma_f64 v[14:15], v[28:29], s[36:37], -v[14:15]
	v_add_f64 v[62:63], v[12:13], v[40:41]
	v_mul_f64 v[12:13], v[114:115], s[42:43]
	v_add_f64 v[102:103], v[14:15], v[22:23]
	v_fma_f64 v[14:15], s[48:49], v[106:107], v[12:13]
	v_fma_f64 v[4:5], v[106:107], s[54:55], -v[4:5]
	v_add_f64 v[56:57], v[14:15], v[42:43]
	v_mul_f64 v[14:15], v[108:109], s[48:49]
	v_add_f64 v[4:5], v[4:5], v[16:17]
	v_fma_f64 v[16:17], s[56:57], v[110:111], v[14:15]
	v_add_f64 v[90:91], v[58:59], v[90:91]
	v_add_f64 v[58:59], v[16:17], v[52:53]
	v_mul_f64 v[16:17], v[114:115], s[24:25]
	v_fma_f64 v[18:19], s[22:23], v[106:107], v[16:17]
	v_add_f64 v[36:37], v[18:19], v[54:55]
	v_mul_f64 v[18:19], v[108:109], s[22:23]
	v_add_f64 v[104:105], v[30:31], v[20:21]
	v_fma_f64 v[12:13], v[106:107], s[48:49], -v[12:13]
	v_fma_f64 v[20:21], s[20:21], v[110:111], v[18:19]
	v_add_f64 v[12:13], v[12:13], v[38:39]
	v_add_f64 v[38:39], v[20:21], v[70:71]
	v_mul_f64 v[20:21], v[114:115], s[38:39]
	v_fma_f64 v[22:23], s[40:41], v[106:107], v[20:21]
	v_fmac_f64_e32 v[6:7], s[52:53], v[110:111]
	v_add_f64 v[40:41], v[22:23], v[72:73]
	v_mul_f64 v[22:23], v[108:109], s[40:41]
	v_add_f64 v[6:7], v[6:7], v[24:25]
	v_fma_f64 v[24:25], s[50:51], v[110:111], v[22:23]
	v_fma_f64 v[8:9], v[106:107], s[28:29], -v[8:9]
	v_add_f64 v[42:43], v[24:25], v[78:79]
	v_mul_f64 v[24:25], v[114:115], s[18:19]
	v_add_f64 v[8:9], v[8:9], v[26:27]
	v_fma_f64 v[26:27], s[12:13], v[106:107], v[24:25]
	v_add_f64 v[92:93], v[44:45], v[92:93]
	v_add_f64 v[44:45], v[26:27], v[80:81]
	v_mul_f64 v[26:27], v[108:109], s[12:13]
	v_fma_f64 v[28:29], s[10:11], v[110:111], v[26:27]
	v_add_f64 v[84:85], v[46:47], v[84:85]
	v_add_f64 v[46:47], v[28:29], v[86:87]
	v_mul_f64 v[28:29], v[114:115], s[34:35]
	v_fmac_f64_e32 v[14:15], s[42:43], v[110:111]
	v_fma_f64 v[30:31], s[36:37], v[106:107], v[28:29]
	v_add_f64 v[14:15], v[14:15], v[48:49]
	v_add_f64 v[48:49], v[30:31], v[98:99]
	v_mul_f64 v[30:31], v[108:109], s[36:37]
	v_fma_f64 v[16:17], v[106:107], s[22:23], -v[16:17]
	v_fma_f64 v[32:33], s[46:47], v[110:111], v[30:31]
	v_fmac_f64_e32 v[10:11], s[30:31], v[110:111]
	v_add_f64 v[16:17], v[16:17], v[50:51]
	v_add_f64 v[50:51], v[32:33], v[90:91]
	v_mul_f64 v[32:33], v[114:115], s[44:45]
	v_add_f64 v[10:11], v[10:11], v[34:35]
	v_fma_f64 v[34:35], s[8:9], v[106:107], v[32:33]
	v_add_f64 v[52:53], v[34:35], v[88:89]
	v_mul_f64 v[34:35], v[108:109], s[8:9]
	v_fma_f64 v[54:55], s[4:5], v[110:111], v[34:35]
	v_mad_u64_u32 v[70:71], s[4:5], s0, v112, 0
	v_mov_b32_e32 v72, v71
	s_mul_i32 s16, s60, s3
	s_mul_i32 s6, s6, s33
	v_mad_u64_u32 v[72:73], s[0:1], s1, v112, v[72:73]
	s_lshl_b64 s[0:1], s[16:17], 4
	s_lshl_b64 s[4:5], s[6:7], 4
	s_add_u32 s0, s4, s0
	s_addc_u32 s1, s5, s1
	v_mov_b32_e32 v71, v72
	v_mov_b32_e32 v72, 17
	s_add_u32 s0, s0, s14
	v_mul_u32_u24_sdwa v68, v68, v72 dst_sel:DWORD dst_unused:UNUSED_PAD src0_sel:WORD_1 src1_sel:DWORD
	s_addc_u32 s1, s1, s15
	v_mul_lo_u32 v68, v68, s2
	v_lshl_add_u64 v[70:71], v[70:71], 4, s[0:1]
	v_lshl_add_u64 v[72:73], v[68:69], 4, v[70:71]
	v_add_u32_e32 v68, s2, v68
	global_store_dwordx4 v[72:73], v[0:3], off
	v_add_f64 v[54:55], v[54:55], v[92:93]
	v_fma_f64 v[32:33], v[106:107], s[8:9], -v[32:33]
	v_lshl_add_u64 v[0:1], v[68:69], 4, v[70:71]
	v_add_u32_e32 v68, s2, v68
	global_store_dwordx4 v[0:1], v[64:67], off
	v_lshl_add_u64 v[0:1], v[68:69], 4, v[70:71]
	v_add_u32_e32 v68, s2, v68
	global_store_dwordx4 v[0:1], v[60:63], off
	;; [unrolled: 3-line block ×6, first 2 shown]
	v_lshl_add_u64 v[0:1], v[68:69], 4, v[70:71]
	v_add_u32_e32 v68, s2, v68
	v_fmac_f64_e32 v[34:35], s[44:45], v[110:111]
	global_store_dwordx4 v[0:1], v[48:51], off
	v_lshl_add_u64 v[0:1], v[68:69], 4, v[70:71]
	v_add_u32_e32 v68, s2, v68
	v_fma_f64 v[28:29], v[106:107], s[36:37], -v[28:29]
	v_fmac_f64_e32 v[30:31], s[34:35], v[110:111]
	v_add_f64 v[32:33], v[32:33], v[102:103]
	v_add_f64 v[34:35], v[34:35], v[104:105]
	global_store_dwordx4 v[0:1], v[52:55], off
	v_lshl_add_u64 v[0:1], v[68:69], 4, v[70:71]
	v_add_u32_e32 v68, s2, v68
	v_fma_f64 v[24:25], v[106:107], s[12:13], -v[24:25]
	v_fmac_f64_e32 v[26:27], s[18:19], v[110:111]
	v_add_f64 v[28:29], v[28:29], v[100:101]
	v_add_f64 v[30:31], v[30:31], v[84:85]
	;; [unrolled: 7-line block ×3, first 2 shown]
	global_store_dwordx4 v[0:1], v[28:31], off
	v_lshl_add_u64 v[0:1], v[68:69], 4, v[70:71]
	v_add_u32_e32 v68, s2, v68
	v_fmac_f64_e32 v[18:19], s[24:25], v[110:111]
	v_add_f64 v[20:21], v[20:21], v[96:97]
	v_add_f64 v[22:23], v[22:23], v[74:75]
	global_store_dwordx4 v[0:1], v[24:27], off
	v_lshl_add_u64 v[0:1], v[68:69], 4, v[70:71]
	v_add_u32_e32 v68, s2, v68
	v_add_f64 v[18:19], v[18:19], v[94:95]
	global_store_dwordx4 v[0:1], v[20:23], off
	v_lshl_add_u64 v[0:1], v[68:69], 4, v[70:71]
	v_add_u32_e32 v68, s2, v68
	global_store_dwordx4 v[0:1], v[16:19], off
	v_lshl_add_u64 v[0:1], v[68:69], 4, v[70:71]
	v_add_u32_e32 v68, s2, v68
	;; [unrolled: 3-line block ×3, first 2 shown]
	global_store_dwordx4 v[0:1], v[8:11], off
	v_lshl_add_u64 v[0:1], v[68:69], 4, v[70:71]
	global_store_dwordx4 v[0:1], v[4:7], off
	s_endpgm
	.section	.rodata,"a",@progbits
	.p2align	6, 0x0
	.amdhsa_kernel fft_rtc_back_len17_factors_17_wgs_120_tpt_1_dp_op_CI_CI_sbrc_xy_z_diag_dirReg
		.amdhsa_group_segment_fixed_size 0
		.amdhsa_private_segment_fixed_size 0
		.amdhsa_kernarg_size 104
		.amdhsa_user_sgpr_count 2
		.amdhsa_user_sgpr_dispatch_ptr 0
		.amdhsa_user_sgpr_queue_ptr 0
		.amdhsa_user_sgpr_kernarg_segment_ptr 1
		.amdhsa_user_sgpr_dispatch_id 0
		.amdhsa_user_sgpr_kernarg_preload_length 0
		.amdhsa_user_sgpr_kernarg_preload_offset 0
		.amdhsa_user_sgpr_private_segment_size 0
		.amdhsa_uses_dynamic_stack 0
		.amdhsa_enable_private_segment 0
		.amdhsa_system_sgpr_workgroup_id_x 1
		.amdhsa_system_sgpr_workgroup_id_y 0
		.amdhsa_system_sgpr_workgroup_id_z 0
		.amdhsa_system_sgpr_workgroup_info 0
		.amdhsa_system_vgpr_workitem_id 0
		.amdhsa_next_free_vgpr 134
		.amdhsa_next_free_sgpr 61
		.amdhsa_accum_offset 136
		.amdhsa_reserve_vcc 0
		.amdhsa_float_round_mode_32 0
		.amdhsa_float_round_mode_16_64 0
		.amdhsa_float_denorm_mode_32 3
		.amdhsa_float_denorm_mode_16_64 3
		.amdhsa_dx10_clamp 1
		.amdhsa_ieee_mode 1
		.amdhsa_fp16_overflow 0
		.amdhsa_tg_split 0
		.amdhsa_exception_fp_ieee_invalid_op 0
		.amdhsa_exception_fp_denorm_src 0
		.amdhsa_exception_fp_ieee_div_zero 0
		.amdhsa_exception_fp_ieee_overflow 0
		.amdhsa_exception_fp_ieee_underflow 0
		.amdhsa_exception_fp_ieee_inexact 0
		.amdhsa_exception_int_div_zero 0
	.end_amdhsa_kernel
	.text
.Lfunc_end0:
	.size	fft_rtc_back_len17_factors_17_wgs_120_tpt_1_dp_op_CI_CI_sbrc_xy_z_diag_dirReg, .Lfunc_end0-fft_rtc_back_len17_factors_17_wgs_120_tpt_1_dp_op_CI_CI_sbrc_xy_z_diag_dirReg
                                        ; -- End function
	.section	.AMDGPU.csdata,"",@progbits
; Kernel info:
; codeLenInByte = 8884
; NumSgprs: 67
; NumVgprs: 134
; NumAgprs: 0
; TotalNumVgprs: 134
; ScratchSize: 0
; MemoryBound: 0
; FloatMode: 240
; IeeeMode: 1
; LDSByteSize: 0 bytes/workgroup (compile time only)
; SGPRBlocks: 8
; VGPRBlocks: 16
; NumSGPRsForWavesPerEU: 67
; NumVGPRsForWavesPerEU: 134
; AccumOffset: 136
; Occupancy: 3
; WaveLimiterHint : 1
; COMPUTE_PGM_RSRC2:SCRATCH_EN: 0
; COMPUTE_PGM_RSRC2:USER_SGPR: 2
; COMPUTE_PGM_RSRC2:TRAP_HANDLER: 0
; COMPUTE_PGM_RSRC2:TGID_X_EN: 1
; COMPUTE_PGM_RSRC2:TGID_Y_EN: 0
; COMPUTE_PGM_RSRC2:TGID_Z_EN: 0
; COMPUTE_PGM_RSRC2:TIDIG_COMP_CNT: 0
; COMPUTE_PGM_RSRC3_GFX90A:ACCUM_OFFSET: 33
; COMPUTE_PGM_RSRC3_GFX90A:TG_SPLIT: 0
	.text
	.p2alignl 6, 3212836864
	.fill 256, 4, 3212836864
	.type	__hip_cuid_bf33d95e470230c7,@object ; @__hip_cuid_bf33d95e470230c7
	.section	.bss,"aw",@nobits
	.globl	__hip_cuid_bf33d95e470230c7
__hip_cuid_bf33d95e470230c7:
	.byte	0                               ; 0x0
	.size	__hip_cuid_bf33d95e470230c7, 1

	.ident	"AMD clang version 19.0.0git (https://github.com/RadeonOpenCompute/llvm-project roc-6.4.0 25133 c7fe45cf4b819c5991fe208aaa96edf142730f1d)"
	.section	".note.GNU-stack","",@progbits
	.addrsig
	.addrsig_sym __hip_cuid_bf33d95e470230c7
	.amdgpu_metadata
---
amdhsa.kernels:
  - .agpr_count:     0
    .args:
      - .actual_access:  read_only
        .address_space:  global
        .offset:         0
        .size:           8
        .value_kind:     global_buffer
      - .offset:         8
        .size:           8
        .value_kind:     by_value
      - .actual_access:  read_only
        .address_space:  global
        .offset:         16
        .size:           8
        .value_kind:     global_buffer
      - .actual_access:  read_only
        .address_space:  global
        .offset:         24
        .size:           8
        .value_kind:     global_buffer
      - .actual_access:  read_only
        .address_space:  global
        .offset:         32
        .size:           8
        .value_kind:     global_buffer
      - .offset:         40
        .size:           8
        .value_kind:     by_value
      - .actual_access:  read_only
        .address_space:  global
        .offset:         48
        .size:           8
        .value_kind:     global_buffer
      - .actual_access:  read_only
        .address_space:  global
        .offset:         56
        .size:           8
        .value_kind:     global_buffer
      - .offset:         64
        .size:           4
        .value_kind:     by_value
      - .actual_access:  read_only
        .address_space:  global
        .offset:         72
        .size:           8
        .value_kind:     global_buffer
      - .actual_access:  read_only
        .address_space:  global
        .offset:         80
        .size:           8
        .value_kind:     global_buffer
      - .actual_access:  read_only
        .address_space:  global
        .offset:         88
        .size:           8
        .value_kind:     global_buffer
      - .actual_access:  write_only
        .address_space:  global
        .offset:         96
        .size:           8
        .value_kind:     global_buffer
    .group_segment_fixed_size: 0
    .kernarg_segment_align: 8
    .kernarg_segment_size: 104
    .language:       OpenCL C
    .language_version:
      - 2
      - 0
    .max_flat_workgroup_size: 120
    .name:           fft_rtc_back_len17_factors_17_wgs_120_tpt_1_dp_op_CI_CI_sbrc_xy_z_diag_dirReg
    .private_segment_fixed_size: 0
    .sgpr_count:     67
    .sgpr_spill_count: 0
    .symbol:         fft_rtc_back_len17_factors_17_wgs_120_tpt_1_dp_op_CI_CI_sbrc_xy_z_diag_dirReg.kd
    .uniform_work_group_size: 1
    .uses_dynamic_stack: false
    .vgpr_count:     134
    .vgpr_spill_count: 0
    .wavefront_size: 64
amdhsa.target:   amdgcn-amd-amdhsa--gfx950
amdhsa.version:
  - 1
  - 2
...

	.end_amdgpu_metadata
